;; amdgpu-corpus repo=triton-lang/triton kind=triton arch=gfx1201 opt=O3 lang=triton
	.amdgcn_target "amdgcn-amd-amdhsa--gfx1201"
	.amdhsa_code_object_version 5
	.text
	.globl	vecadd_kernel                   ; -- Begin function vecadd_kernel
	.p2align	8
	.type	vecadd_kernel,@function
vecadd_kernel:                          ; @vecadd_kernel
.Lfunc_begin0:
	.file	1 "/root/src/amdgpu-assembly/repos/triton-lang__triton-aot" "vecadd_pipelined.py"
	.loc	1 8 0                           ; vecadd_pipelined.py:8:0
	.cfi_sections .debug_frame
	.cfi_startproc
; %bb.0:
	s_load_b32 s15, s[0:1], 0x1c
.Ltmp0:
	.loc	1 12 37 prologue_end            ; vecadd_pipelined.py:12:37
	s_wait_kmcnt 0x0
	s_cmp_lt_i32 s15, 1
	s_cbranch_scc1 .LBB0_51
; %bb.1:                                ; %.lr.ph.preheader
	.loc	1 0 37 is_stmt 0                ; vecadd_pipelined.py:0:37
	s_clause 0x1
	s_load_b128 s[8:11], s[0:1], 0x0
	s_load_b96 s[12:14], s[0:1], 0x10
	.loc	1 11 41 is_stmt 1               ; vecadd_pipelined.py:11:41
	v_and_b32_e32 v0, 31, v0
	s_bfe_u32 s0, ttmp8, 0x50019
	s_delay_alu instid0(VALU_DEP_1) | instid1(SALU_CYCLE_1)
	v_lshl_or_b32 v0, s0, 5, v0
	.loc	1 10 37                         ; vecadd_pipelined.py:10:37
	s_mul_i32 s0, ttmp9, s15
	s_wait_alu depctr_sa_sdst(0)
	s_lshl_b32 s0, s0, 11
	.loc	1 11 28                         ; vecadd_pipelined.py:11:28
	s_wait_alu depctr_sa_sdst(0)
	v_or3_b32 v0, s0, v0, 0x700
	s_branch .LBB0_3
.LBB0_2:                                ;   in Loop: Header=BB0_3 Depth=1
	.loc	1 0 28 is_stmt 0                ; vecadd_pipelined.py:0:28
	s_wait_alu depctr_sa_sdst(0)
	s_or_b32 exec_lo, exec_lo, s0
	.loc	1 18 19 is_stmt 1               ; vecadd_pipelined.py:18:19
	v_add_nc_u32_e32 v0, 0x800, v0
	.loc	1 12 37                         ; vecadd_pipelined.py:12:37
	s_add_co_i32 s15, s15, -1
	s_wait_alu depctr_sa_sdst(0)
	s_cmp_lg_u32 s15, 0
	s_cbranch_scc0 .LBB0_51
.LBB0_3:                                ; %.lr.ph
                                        ; =>This Inner Loop Header: Depth=1
	.loc	1 0 37 is_stmt 0                ; vecadd_pipelined.py:0:37
	s_wait_loadcnt 0x0
	s_delay_alu instid0(VALU_DEP_1) | instskip(SKIP_2) | instid1(VALU_DEP_2)
	v_dual_mov_b32 v17, 0 :: v_dual_add_nc_u32 v2, 0xfffff900, v0
	v_mov_b32_e32 v16, 0
	.loc	1 13 25 is_stmt 1               ; vecadd_pipelined.py:13:25
	s_wait_kmcnt 0x0
	v_cmp_gt_i32_e32 vcc_lo, s14, v2
	.loc	1 14 20                         ; vecadd_pipelined.py:14:20
	s_and_saveexec_b32 s1, vcc_lo
	s_cbranch_execz .LBB0_5
; %bb.4:                                ;   in Loop: Header=BB0_3 Depth=1
	.loc	1 0 20 is_stmt 0                ; vecadd_pipelined.py:0:20
	v_ashrrev_i32_e32 v3, 31, v2
	s_delay_alu instid0(VALU_DEP_1) | instskip(NEXT) | instid1(VALU_DEP_1)
	v_lshlrev_b64_e32 v[3:4], 2, v[2:3]
	v_add_co_u32 v3, s0, s8, v3
	s_wait_alu depctr_va_sdst(0)
	s_delay_alu instid0(VALU_DEP_2)
	v_add_co_ci_u32_e64 v4, null, s9, v4, s0
	.loc	1 14 20                         ; vecadd_pipelined.py:14:20
	global_load_b32 v17, v[3:4], off
.LBB0_5:                                ;   in Loop: Header=BB0_3 Depth=1
	.loc	1 0 20                          ; vecadd_pipelined.py:0:20
	s_wait_alu depctr_sa_sdst(0)
	s_or_b32 exec_lo, exec_lo, s1
	.loc	1 13 25 is_stmt 1               ; vecadd_pipelined.py:13:25
	v_add_nc_u32_e32 v4, 0xfffffa00, v0
	s_delay_alu instid0(VALU_DEP_1)
	v_cmp_gt_i32_e64 s0, s14, v4
	.loc	1 14 28                         ; vecadd_pipelined.py:14:28
	v_ashrrev_i32_e32 v5, 31, v4
	.loc	1 14 20 is_stmt 0               ; vecadd_pipelined.py:14:20
	s_and_saveexec_b32 s2, s0
	s_cbranch_execz .LBB0_7
; %bb.6:                                ;   in Loop: Header=BB0_3 Depth=1
	.loc	1 0 20                          ; vecadd_pipelined.py:0:20
	s_delay_alu instid0(VALU_DEP_1) | instskip(NEXT) | instid1(VALU_DEP_1)
	.loc	1 14 28                         ; vecadd_pipelined.py:14:28
	v_lshlrev_b64_e32 v[6:7], 2, v[4:5]
	v_add_co_u32 v6, s1, s8, v6
	s_wait_alu depctr_va_sdst(0)
	s_delay_alu instid0(VALU_DEP_2)
	v_add_co_ci_u32_e64 v7, null, s9, v7, s1
	.loc	1 14 20                         ; vecadd_pipelined.py:14:20
	global_load_b32 v16, v[6:7], off
.LBB0_7:                                ;   in Loop: Header=BB0_3 Depth=1
	.loc	1 0 20                          ; vecadd_pipelined.py:0:20
	s_wait_alu depctr_sa_sdst(0)
	s_or_b32 exec_lo, exec_lo, s2
	.loc	1 13 25 is_stmt 1               ; vecadd_pipelined.py:13:25
	v_add_nc_u32_e32 v6, 0xfffffb00, v0
	v_mov_b32_e32 v18, 0
	v_mov_b32_e32 v20, 0
	s_delay_alu instid0(VALU_DEP_3)
	v_cmp_gt_i32_e64 s1, s14, v6
	.loc	1 14 28                         ; vecadd_pipelined.py:14:28
	v_ashrrev_i32_e32 v7, 31, v6
	.loc	1 14 20 is_stmt 0               ; vecadd_pipelined.py:14:20
	s_and_saveexec_b32 s3, s1
	s_cbranch_execz .LBB0_9
; %bb.8:                                ;   in Loop: Header=BB0_3 Depth=1
	.loc	1 0 20                          ; vecadd_pipelined.py:0:20
	s_delay_alu instid0(VALU_DEP_1) | instskip(NEXT) | instid1(VALU_DEP_1)
	.loc	1 14 28                         ; vecadd_pipelined.py:14:28
	v_lshlrev_b64_e32 v[8:9], 2, v[6:7]
	v_add_co_u32 v8, s2, s8, v8
	s_wait_alu depctr_va_sdst(0)
	s_delay_alu instid0(VALU_DEP_2)
	v_add_co_ci_u32_e64 v9, null, s9, v9, s2
	.loc	1 14 20                         ; vecadd_pipelined.py:14:20
	global_load_b32 v20, v[8:9], off
.LBB0_9:                                ;   in Loop: Header=BB0_3 Depth=1
	.loc	1 0 20                          ; vecadd_pipelined.py:0:20
	s_wait_alu depctr_sa_sdst(0)
	s_or_b32 exec_lo, exec_lo, s3
	.loc	1 13 25 is_stmt 1               ; vecadd_pipelined.py:13:25
	v_add_nc_u32_e32 v8, 0xfffffc00, v0
	s_delay_alu instid0(VALU_DEP_1)
	v_cmp_gt_i32_e64 s2, s14, v8
	.loc	1 14 28                         ; vecadd_pipelined.py:14:28
	v_ashrrev_i32_e32 v9, 31, v8
	.loc	1 14 20 is_stmt 0               ; vecadd_pipelined.py:14:20
	s_and_saveexec_b32 s4, s2
	s_cbranch_execz .LBB0_11
; %bb.10:                               ;   in Loop: Header=BB0_3 Depth=1
	.loc	1 0 20                          ; vecadd_pipelined.py:0:20
	s_delay_alu instid0(VALU_DEP_1) | instskip(NEXT) | instid1(VALU_DEP_1)
	.loc	1 14 28                         ; vecadd_pipelined.py:14:28
	v_lshlrev_b64_e32 v[10:11], 2, v[8:9]
	v_add_co_u32 v10, s3, s8, v10
	s_wait_alu depctr_va_sdst(0)
	s_delay_alu instid0(VALU_DEP_2)
	v_add_co_ci_u32_e64 v11, null, s9, v11, s3
	.loc	1 14 20                         ; vecadd_pipelined.py:14:20
	global_load_b32 v18, v[10:11], off
.LBB0_11:                               ;   in Loop: Header=BB0_3 Depth=1
	.loc	1 0 20                          ; vecadd_pipelined.py:0:20
	s_wait_alu depctr_sa_sdst(0)
	s_or_b32 exec_lo, exec_lo, s4
	v_dual_mov_b32 v19, 0 :: v_dual_add_nc_u32 v10, 0xfffffd00, v0
	v_mov_b32_e32 v22, 0
	s_delay_alu instid0(VALU_DEP_2)
	.loc	1 13 25 is_stmt 1               ; vecadd_pipelined.py:13:25
	v_cmp_gt_i32_e64 s3, s14, v10
	.loc	1 14 28                         ; vecadd_pipelined.py:14:28
	v_ashrrev_i32_e32 v11, 31, v10
	.loc	1 14 20 is_stmt 0               ; vecadd_pipelined.py:14:20
	s_and_saveexec_b32 s5, s3
	s_cbranch_execz .LBB0_13
; %bb.12:                               ;   in Loop: Header=BB0_3 Depth=1
	.loc	1 0 20                          ; vecadd_pipelined.py:0:20
	s_delay_alu instid0(VALU_DEP_1) | instskip(NEXT) | instid1(VALU_DEP_1)
	.loc	1 14 28                         ; vecadd_pipelined.py:14:28
	v_lshlrev_b64_e32 v[12:13], 2, v[10:11]
	v_add_co_u32 v12, s4, s8, v12
	s_wait_alu depctr_va_sdst(0)
	s_delay_alu instid0(VALU_DEP_2)
	v_add_co_ci_u32_e64 v13, null, s9, v13, s4
	.loc	1 14 20                         ; vecadd_pipelined.py:14:20
	global_load_b32 v22, v[12:13], off
.LBB0_13:                               ;   in Loop: Header=BB0_3 Depth=1
	.loc	1 0 20                          ; vecadd_pipelined.py:0:20
	s_wait_alu depctr_sa_sdst(0)
	s_or_b32 exec_lo, exec_lo, s5
	.loc	1 13 25 is_stmt 1               ; vecadd_pipelined.py:13:25
	v_add_nc_u32_e32 v12, 0xfffffe00, v0
	s_delay_alu instid0(VALU_DEP_1)
	v_cmp_gt_i32_e64 s4, s14, v12
	.loc	1 14 28                         ; vecadd_pipelined.py:14:28
	v_ashrrev_i32_e32 v13, 31, v12
	.loc	1 14 20 is_stmt 0               ; vecadd_pipelined.py:14:20
	s_and_saveexec_b32 s6, s4
	s_cbranch_execz .LBB0_15
; %bb.14:                               ;   in Loop: Header=BB0_3 Depth=1
	.loc	1 0 20                          ; vecadd_pipelined.py:0:20
	s_delay_alu instid0(VALU_DEP_1) | instskip(NEXT) | instid1(VALU_DEP_1)
	.loc	1 14 28                         ; vecadd_pipelined.py:14:28
	v_lshlrev_b64_e32 v[14:15], 2, v[12:13]
	v_add_co_u32 v14, s5, s8, v14
	s_wait_alu depctr_va_sdst(0)
	s_delay_alu instid0(VALU_DEP_2)
	v_add_co_ci_u32_e64 v15, null, s9, v15, s5
	.loc	1 14 20                         ; vecadd_pipelined.py:14:20
	global_load_b32 v19, v[14:15], off
.LBB0_15:                               ;   in Loop: Header=BB0_3 Depth=1
	.loc	1 0 20                          ; vecadd_pipelined.py:0:20
	s_wait_alu depctr_sa_sdst(0)
	s_or_b32 exec_lo, exec_lo, s6
	v_dual_mov_b32 v21, 0 :: v_dual_add_nc_u32 v14, 0xffffff00, v0
	v_mov_b32_e32 v23, 0
	s_delay_alu instid0(VALU_DEP_2)
	.loc	1 13 25 is_stmt 1               ; vecadd_pipelined.py:13:25
	v_cmp_gt_i32_e64 s5, s14, v14
	.loc	1 14 28                         ; vecadd_pipelined.py:14:28
	v_ashrrev_i32_e32 v15, 31, v14
	.loc	1 14 20 is_stmt 0               ; vecadd_pipelined.py:14:20
	s_and_saveexec_b32 s7, s5
	s_cbranch_execz .LBB0_17
; %bb.16:                               ;   in Loop: Header=BB0_3 Depth=1
	.loc	1 0 20                          ; vecadd_pipelined.py:0:20
	s_delay_alu instid0(VALU_DEP_1) | instskip(NEXT) | instid1(VALU_DEP_1)
	.loc	1 14 28                         ; vecadd_pipelined.py:14:28
	v_lshlrev_b64_e32 v[23:24], 2, v[14:15]
	v_add_co_u32 v23, s6, s8, v23
	s_wait_alu depctr_va_sdst(0)
	s_delay_alu instid0(VALU_DEP_2)
	v_add_co_ci_u32_e64 v24, null, s9, v24, s6
	.loc	1 14 20                         ; vecadd_pipelined.py:14:20
	global_load_b32 v23, v[23:24], off
.LBB0_17:                               ;   in Loop: Header=BB0_3 Depth=1
	.loc	1 0 20                          ; vecadd_pipelined.py:0:20
	s_wait_alu depctr_sa_sdst(0)
	s_or_b32 exec_lo, exec_lo, s7
	.loc	1 13 25 is_stmt 1               ; vecadd_pipelined.py:13:25
	v_cmp_gt_i32_e64 s6, s14, v0
	.loc	1 14 28                         ; vecadd_pipelined.py:14:28
	v_ashrrev_i32_e32 v1, 31, v0
	.loc	1 14 20 is_stmt 0               ; vecadd_pipelined.py:14:20
	s_and_saveexec_b32 s16, s6
	s_cbranch_execz .LBB0_19
; %bb.18:                               ;   in Loop: Header=BB0_3 Depth=1
	.loc	1 0 20                          ; vecadd_pipelined.py:0:20
	s_delay_alu instid0(VALU_DEP_1) | instskip(NEXT) | instid1(VALU_DEP_1)
	.loc	1 14 28                         ; vecadd_pipelined.py:14:28
	v_lshlrev_b64_e32 v[24:25], 2, v[0:1]
	v_add_co_u32 v24, s7, s8, v24
	s_wait_alu depctr_va_sdst(0)
	s_delay_alu instid0(VALU_DEP_2)
	v_add_co_ci_u32_e64 v25, null, s9, v25, s7
	.loc	1 14 20                         ; vecadd_pipelined.py:14:20
	global_load_b32 v21, v[24:25], off
.LBB0_19:                               ;   in Loop: Header=BB0_3 Depth=1
	.loc	1 0 20                          ; vecadd_pipelined.py:0:20
	s_or_b32 exec_lo, exec_lo, s16
	v_mov_b32_e32 v24, 0
	v_mov_b32_e32 v28, 0
	.loc	1 15 20 is_stmt 1               ; vecadd_pipelined.py:15:20
	s_and_saveexec_b32 s16, vcc_lo
	s_cbranch_execz .LBB0_21
; %bb.20:                               ;   in Loop: Header=BB0_3 Depth=1
	.loc	1 0 20 is_stmt 0                ; vecadd_pipelined.py:0:20
	v_ashrrev_i32_e32 v3, 31, v2
	s_delay_alu instid0(VALU_DEP_1) | instskip(NEXT) | instid1(VALU_DEP_1)
	v_lshlrev_b64_e32 v[25:26], 2, v[2:3]
	v_add_co_u32 v25, s7, s10, v25
	s_wait_alu depctr_va_sdst(0)
	s_delay_alu instid0(VALU_DEP_2)
	v_add_co_ci_u32_e64 v26, null, s11, v26, s7
	.loc	1 15 20                         ; vecadd_pipelined.py:15:20
	global_load_b32 v28, v[25:26], off
.LBB0_21:                               ;   in Loop: Header=BB0_3 Depth=1
	.loc	1 0 20                          ; vecadd_pipelined.py:0:20
	s_or_b32 exec_lo, exec_lo, s16
	.loc	1 15 20                         ; vecadd_pipelined.py:15:20
	s_and_saveexec_b32 s16, s0
	s_cbranch_execz .LBB0_23
; %bb.22:                               ;   in Loop: Header=BB0_3 Depth=1
	.loc	1 15 28                         ; vecadd_pipelined.py:15:28
	v_lshlrev_b64_e32 v[24:25], 2, v[4:5]
	s_delay_alu instid0(VALU_DEP_1) | instskip(SKIP_1) | instid1(VALU_DEP_2)
	v_add_co_u32 v24, s7, s10, v24
	s_wait_alu depctr_va_sdst(0)
	v_add_co_ci_u32_e64 v25, null, s11, v25, s7
	.loc	1 15 20                         ; vecadd_pipelined.py:15:20
	global_load_b32 v24, v[24:25], off
.LBB0_23:                               ;   in Loop: Header=BB0_3 Depth=1
	.loc	1 0 20                          ; vecadd_pipelined.py:0:20
	s_or_b32 exec_lo, exec_lo, s16
	v_mov_b32_e32 v25, 0
	v_mov_b32_e32 v29, 0
	.loc	1 15 20                         ; vecadd_pipelined.py:15:20
	s_and_saveexec_b32 s16, s1
	s_cbranch_execz .LBB0_25
; %bb.24:                               ;   in Loop: Header=BB0_3 Depth=1
	.loc	1 15 28                         ; vecadd_pipelined.py:15:28
	v_lshlrev_b64_e32 v[26:27], 2, v[6:7]
	s_delay_alu instid0(VALU_DEP_1) | instskip(SKIP_1) | instid1(VALU_DEP_2)
	v_add_co_u32 v26, s7, s10, v26
	s_wait_alu depctr_va_sdst(0)
	v_add_co_ci_u32_e64 v27, null, s11, v27, s7
	.loc	1 15 20                         ; vecadd_pipelined.py:15:20
	global_load_b32 v29, v[26:27], off
.LBB0_25:                               ;   in Loop: Header=BB0_3 Depth=1
	.loc	1 0 20                          ; vecadd_pipelined.py:0:20
	s_or_b32 exec_lo, exec_lo, s16
	.loc	1 15 20                         ; vecadd_pipelined.py:15:20
	s_and_saveexec_b32 s16, s2
	s_cbranch_execz .LBB0_27
; %bb.26:                               ;   in Loop: Header=BB0_3 Depth=1
	.loc	1 15 28                         ; vecadd_pipelined.py:15:28
	v_lshlrev_b64_e32 v[25:26], 2, v[8:9]
	s_delay_alu instid0(VALU_DEP_1) | instskip(SKIP_1) | instid1(VALU_DEP_2)
	v_add_co_u32 v25, s7, s10, v25
	s_wait_alu depctr_va_sdst(0)
	v_add_co_ci_u32_e64 v26, null, s11, v26, s7
	.loc	1 15 20                         ; vecadd_pipelined.py:15:20
	global_load_b32 v25, v[25:26], off
.LBB0_27:                               ;   in Loop: Header=BB0_3 Depth=1
	.loc	1 0 20                          ; vecadd_pipelined.py:0:20
	s_or_b32 exec_lo, exec_lo, s16
	v_mov_b32_e32 v26, 0
	v_mov_b32_e32 v30, 0
	.loc	1 15 20                         ; vecadd_pipelined.py:15:20
	s_and_saveexec_b32 s16, s3
	s_cbranch_execz .LBB0_29
; %bb.28:                               ;   in Loop: Header=BB0_3 Depth=1
	.loc	1 15 28                         ; vecadd_pipelined.py:15:28
	v_lshlrev_b64_e32 v[30:31], 2, v[10:11]
	s_delay_alu instid0(VALU_DEP_1) | instskip(SKIP_1) | instid1(VALU_DEP_2)
	v_add_co_u32 v30, s7, s10, v30
	s_wait_alu depctr_va_sdst(0)
	v_add_co_ci_u32_e64 v31, null, s11, v31, s7
	.loc	1 15 20                         ; vecadd_pipelined.py:15:20
	global_load_b32 v30, v[30:31], off
.LBB0_29:                               ;   in Loop: Header=BB0_3 Depth=1
	.loc	1 0 20                          ; vecadd_pipelined.py:0:20
	s_or_b32 exec_lo, exec_lo, s16
	.loc	1 15 20                         ; vecadd_pipelined.py:15:20
	s_and_saveexec_b32 s16, s4
	s_cbranch_execz .LBB0_31
; %bb.30:                               ;   in Loop: Header=BB0_3 Depth=1
	.loc	1 15 28                         ; vecadd_pipelined.py:15:28
	v_lshlrev_b64_e32 v[26:27], 2, v[12:13]
	s_delay_alu instid0(VALU_DEP_1) | instskip(SKIP_1) | instid1(VALU_DEP_2)
	v_add_co_u32 v26, s7, s10, v26
	s_wait_alu depctr_va_sdst(0)
	v_add_co_ci_u32_e64 v27, null, s11, v27, s7
	.loc	1 15 20                         ; vecadd_pipelined.py:15:20
	global_load_b32 v26, v[26:27], off
.LBB0_31:                               ;   in Loop: Header=BB0_3 Depth=1
	.loc	1 0 20                          ; vecadd_pipelined.py:0:20
	s_or_b32 exec_lo, exec_lo, s16
	v_mov_b32_e32 v27, 0
	v_mov_b32_e32 v31, 0
	.loc	1 15 20                         ; vecadd_pipelined.py:15:20
	s_and_saveexec_b32 s16, s5
	s_cbranch_execnz .LBB0_41
; %bb.32:                               ;   in Loop: Header=BB0_3 Depth=1
	.loc	1 0 20                          ; vecadd_pipelined.py:0:20
	s_or_b32 exec_lo, exec_lo, s16
	.loc	1 15 20                         ; vecadd_pipelined.py:15:20
	s_and_saveexec_b32 s16, s6
	s_cbranch_execnz .LBB0_42
.LBB0_33:                               ;   in Loop: Header=BB0_3 Depth=1
	.loc	1 0 20                          ; vecadd_pipelined.py:0:20
	s_or_b32 exec_lo, exec_lo, s16
	.loc	1 17 39 is_stmt 1               ; vecadd_pipelined.py:17:39
	s_and_saveexec_b32 s7, vcc_lo
	s_cbranch_execnz .LBB0_43
.LBB0_34:                               ;   in Loop: Header=BB0_3 Depth=1
	.loc	1 0 39 is_stmt 0                ; vecadd_pipelined.py:0:39
	s_wait_alu depctr_sa_sdst(0)
	s_or_b32 exec_lo, exec_lo, s7
	.loc	1 17 39                         ; vecadd_pipelined.py:17:39
	s_and_saveexec_b32 s7, s0
	s_cbranch_execnz .LBB0_44
.LBB0_35:                               ;   in Loop: Header=BB0_3 Depth=1
	.loc	1 0 39                          ; vecadd_pipelined.py:0:39
	s_wait_alu depctr_sa_sdst(0)
	s_or_b32 exec_lo, exec_lo, s7
	.loc	1 17 39                         ; vecadd_pipelined.py:17:39
	s_and_saveexec_b32 s0, s1
	s_cbranch_execnz .LBB0_45
.LBB0_36:                               ;   in Loop: Header=BB0_3 Depth=1
	.loc	1 0 39                          ; vecadd_pipelined.py:0:39
	s_wait_alu depctr_sa_sdst(0)
	s_or_b32 exec_lo, exec_lo, s0
	.loc	1 17 39                         ; vecadd_pipelined.py:17:39
	s_and_saveexec_b32 s0, s2
	s_cbranch_execnz .LBB0_46
.LBB0_37:                               ;   in Loop: Header=BB0_3 Depth=1
	.loc	1 0 39                          ; vecadd_pipelined.py:0:39
	s_wait_alu depctr_sa_sdst(0)
	s_or_b32 exec_lo, exec_lo, s0
	.loc	1 17 39                         ; vecadd_pipelined.py:17:39
	s_and_saveexec_b32 s0, s3
	s_cbranch_execnz .LBB0_47
.LBB0_38:                               ;   in Loop: Header=BB0_3 Depth=1
	.loc	1 0 39                          ; vecadd_pipelined.py:0:39
	s_wait_alu depctr_sa_sdst(0)
	s_or_b32 exec_lo, exec_lo, s0
	.loc	1 17 39                         ; vecadd_pipelined.py:17:39
	s_and_saveexec_b32 s0, s4
	s_cbranch_execnz .LBB0_48
.LBB0_39:                               ;   in Loop: Header=BB0_3 Depth=1
	.loc	1 0 39                          ; vecadd_pipelined.py:0:39
	s_wait_alu depctr_sa_sdst(0)
	s_or_b32 exec_lo, exec_lo, s0
	.loc	1 17 39                         ; vecadd_pipelined.py:17:39
	s_and_saveexec_b32 s0, s5
	s_cbranch_execnz .LBB0_49
.LBB0_40:                               ;   in Loop: Header=BB0_3 Depth=1
	.loc	1 0 39                          ; vecadd_pipelined.py:0:39
	s_wait_alu depctr_sa_sdst(0)
	s_or_b32 exec_lo, exec_lo, s0
	.loc	1 17 39                         ; vecadd_pipelined.py:17:39
	s_and_saveexec_b32 s0, s6
	s_cbranch_execz .LBB0_2
	s_branch .LBB0_50
.LBB0_41:                               ;   in Loop: Header=BB0_3 Depth=1
	.loc	1 15 28 is_stmt 1               ; vecadd_pipelined.py:15:28
	v_lshlrev_b64_e32 v[31:32], 2, v[14:15]
	s_delay_alu instid0(VALU_DEP_1) | instskip(SKIP_1) | instid1(VALU_DEP_2)
	v_add_co_u32 v31, s7, s10, v31
	s_wait_alu depctr_va_sdst(0)
	v_add_co_ci_u32_e64 v32, null, s11, v32, s7
	.loc	1 15 20 is_stmt 0               ; vecadd_pipelined.py:15:20
	global_load_b32 v31, v[31:32], off
	s_or_b32 exec_lo, exec_lo, s16
	s_and_saveexec_b32 s16, s6
	s_cbranch_execz .LBB0_33
.LBB0_42:                               ;   in Loop: Header=BB0_3 Depth=1
	.loc	1 15 28                         ; vecadd_pipelined.py:15:28
	v_lshlrev_b64_e32 v[32:33], 2, v[0:1]
	s_delay_alu instid0(VALU_DEP_1) | instskip(SKIP_1) | instid1(VALU_DEP_2)
	v_add_co_u32 v32, s7, s10, v32
	s_wait_alu depctr_va_sdst(0)
	v_add_co_ci_u32_e64 v33, null, s11, v33, s7
	.loc	1 15 20                         ; vecadd_pipelined.py:15:20
	global_load_b32 v27, v[32:33], off
	s_or_b32 exec_lo, exec_lo, s16
	.loc	1 17 39 is_stmt 1               ; vecadd_pipelined.py:17:39
	s_and_saveexec_b32 s7, vcc_lo
	s_cbranch_execz .LBB0_34
.LBB0_43:                               ;   in Loop: Header=BB0_3 Depth=1
	.loc	1 0 39 is_stmt 0                ; vecadd_pipelined.py:0:39
	v_ashrrev_i32_e32 v3, 31, v2
	s_wait_loadcnt 0x0
	v_add_f32_e32 v17, v17, v28
	s_delay_alu instid0(VALU_DEP_2) | instskip(NEXT) | instid1(VALU_DEP_1)
	v_lshlrev_b64_e32 v[2:3], 2, v[2:3]
	v_add_co_u32 v2, vcc_lo, s12, v2
	s_wait_alu depctr_va_vcc(0)
	s_delay_alu instid0(VALU_DEP_2)
	v_add_co_ci_u32_e64 v3, null, s13, v3, vcc_lo
	.loc	1 17 39                         ; vecadd_pipelined.py:17:39
	global_store_b32 v[2:3], v17, off
	s_wait_alu depctr_sa_sdst(0)
	s_or_b32 exec_lo, exec_lo, s7
	s_and_saveexec_b32 s7, s0
	s_cbranch_execz .LBB0_35
.LBB0_44:                               ;   in Loop: Header=BB0_3 Depth=1
	.loc	1 17 30                         ; vecadd_pipelined.py:17:30
	v_lshlrev_b64_e32 v[2:3], 2, v[4:5]
	.loc	1 16 21 is_stmt 1               ; vecadd_pipelined.py:16:21
	s_wait_loadcnt 0x0
	v_add_f32_e32 v4, v16, v24
	s_delay_alu instid0(VALU_DEP_2) | instskip(SKIP_1) | instid1(VALU_DEP_3)
	.loc	1 17 30                         ; vecadd_pipelined.py:17:30
	v_add_co_u32 v2, vcc_lo, s12, v2
	s_wait_alu depctr_va_vcc(0)
	v_add_co_ci_u32_e64 v3, null, s13, v3, vcc_lo
	.loc	1 17 39 is_stmt 0               ; vecadd_pipelined.py:17:39
	global_store_b32 v[2:3], v4, off
	s_wait_alu depctr_sa_sdst(0)
	s_or_b32 exec_lo, exec_lo, s7
	s_and_saveexec_b32 s0, s1
	s_cbranch_execz .LBB0_36
.LBB0_45:                               ;   in Loop: Header=BB0_3 Depth=1
	.loc	1 17 30                         ; vecadd_pipelined.py:17:30
	v_lshlrev_b64_e32 v[2:3], 2, v[6:7]
	.loc	1 16 21 is_stmt 1               ; vecadd_pipelined.py:16:21
	s_wait_loadcnt 0x0
	v_add_f32_e32 v4, v20, v29
	s_delay_alu instid0(VALU_DEP_2) | instskip(SKIP_1) | instid1(VALU_DEP_3)
	.loc	1 17 30                         ; vecadd_pipelined.py:17:30
	v_add_co_u32 v2, vcc_lo, s12, v2
	s_wait_alu depctr_va_vcc(0)
	v_add_co_ci_u32_e64 v3, null, s13, v3, vcc_lo
	.loc	1 17 39 is_stmt 0               ; vecadd_pipelined.py:17:39
	global_store_b32 v[2:3], v4, off
	s_wait_alu depctr_sa_sdst(0)
	s_or_b32 exec_lo, exec_lo, s0
	s_and_saveexec_b32 s0, s2
	s_cbranch_execz .LBB0_37
.LBB0_46:                               ;   in Loop: Header=BB0_3 Depth=1
	.loc	1 17 30                         ; vecadd_pipelined.py:17:30
	v_lshlrev_b64_e32 v[2:3], 2, v[8:9]
	.loc	1 16 21 is_stmt 1               ; vecadd_pipelined.py:16:21
	s_wait_loadcnt 0x0
	v_add_f32_e32 v4, v18, v25
	s_delay_alu instid0(VALU_DEP_2) | instskip(SKIP_1) | instid1(VALU_DEP_3)
	.loc	1 17 30                         ; vecadd_pipelined.py:17:30
	v_add_co_u32 v2, vcc_lo, s12, v2
	s_wait_alu depctr_va_vcc(0)
	v_add_co_ci_u32_e64 v3, null, s13, v3, vcc_lo
	.loc	1 17 39 is_stmt 0               ; vecadd_pipelined.py:17:39
	global_store_b32 v[2:3], v4, off
	s_wait_alu depctr_sa_sdst(0)
	s_or_b32 exec_lo, exec_lo, s0
	s_and_saveexec_b32 s0, s3
	s_cbranch_execz .LBB0_38
.LBB0_47:                               ;   in Loop: Header=BB0_3 Depth=1
	.loc	1 17 30                         ; vecadd_pipelined.py:17:30
	v_lshlrev_b64_e32 v[2:3], 2, v[10:11]
	.loc	1 16 21 is_stmt 1               ; vecadd_pipelined.py:16:21
	s_wait_loadcnt 0x0
	v_add_f32_e32 v4, v22, v30
	s_delay_alu instid0(VALU_DEP_2) | instskip(SKIP_1) | instid1(VALU_DEP_3)
	.loc	1 17 30                         ; vecadd_pipelined.py:17:30
	v_add_co_u32 v2, vcc_lo, s12, v2
	s_wait_alu depctr_va_vcc(0)
	v_add_co_ci_u32_e64 v3, null, s13, v3, vcc_lo
	.loc	1 17 39 is_stmt 0               ; vecadd_pipelined.py:17:39
	global_store_b32 v[2:3], v4, off
	s_wait_alu depctr_sa_sdst(0)
	s_or_b32 exec_lo, exec_lo, s0
	s_and_saveexec_b32 s0, s4
	s_cbranch_execz .LBB0_39
.LBB0_48:                               ;   in Loop: Header=BB0_3 Depth=1
	.loc	1 17 30                         ; vecadd_pipelined.py:17:30
	v_lshlrev_b64_e32 v[2:3], 2, v[12:13]
	.loc	1 16 21 is_stmt 1               ; vecadd_pipelined.py:16:21
	s_wait_loadcnt 0x0
	v_add_f32_e32 v4, v19, v26
	s_delay_alu instid0(VALU_DEP_2) | instskip(SKIP_1) | instid1(VALU_DEP_3)
	.loc	1 17 30                         ; vecadd_pipelined.py:17:30
	v_add_co_u32 v2, vcc_lo, s12, v2
	s_wait_alu depctr_va_vcc(0)
	v_add_co_ci_u32_e64 v3, null, s13, v3, vcc_lo
	.loc	1 17 39 is_stmt 0               ; vecadd_pipelined.py:17:39
	global_store_b32 v[2:3], v4, off
	s_wait_alu depctr_sa_sdst(0)
	s_or_b32 exec_lo, exec_lo, s0
	s_and_saveexec_b32 s0, s5
	s_cbranch_execz .LBB0_40
.LBB0_49:                               ;   in Loop: Header=BB0_3 Depth=1
	.loc	1 17 30                         ; vecadd_pipelined.py:17:30
	v_lshlrev_b64_e32 v[2:3], 2, v[14:15]
	.loc	1 16 21 is_stmt 1               ; vecadd_pipelined.py:16:21
	s_wait_loadcnt 0x0
	v_add_f32_e32 v4, v23, v31
	s_delay_alu instid0(VALU_DEP_2) | instskip(SKIP_1) | instid1(VALU_DEP_3)
	.loc	1 17 30                         ; vecadd_pipelined.py:17:30
	v_add_co_u32 v2, vcc_lo, s12, v2
	s_wait_alu depctr_va_vcc(0)
	v_add_co_ci_u32_e64 v3, null, s13, v3, vcc_lo
	.loc	1 17 39 is_stmt 0               ; vecadd_pipelined.py:17:39
	global_store_b32 v[2:3], v4, off
	s_wait_alu depctr_sa_sdst(0)
	s_or_b32 exec_lo, exec_lo, s0
	s_and_saveexec_b32 s0, s6
	s_cbranch_execz .LBB0_2
.LBB0_50:                               ;   in Loop: Header=BB0_3 Depth=1
	.loc	1 17 30                         ; vecadd_pipelined.py:17:30
	v_lshlrev_b64_e32 v[1:2], 2, v[0:1]
	.loc	1 16 21 is_stmt 1               ; vecadd_pipelined.py:16:21
	s_wait_loadcnt 0x0
	v_add_f32_e32 v3, v21, v27
	s_delay_alu instid0(VALU_DEP_2) | instskip(SKIP_1) | instid1(VALU_DEP_3)
	.loc	1 17 30                         ; vecadd_pipelined.py:17:30
	v_add_co_u32 v1, vcc_lo, s12, v1
	s_wait_alu depctr_va_vcc(0)
	v_add_co_ci_u32_e64 v2, null, s13, v2, vcc_lo
	.loc	1 17 39 is_stmt 0               ; vecadd_pipelined.py:17:39
	global_store_b32 v[1:2], v3, off
	s_branch .LBB0_2
.LBB0_51:                               ; %._crit_edge
	.loc	1 12 4 is_stmt 1                ; vecadd_pipelined.py:12:4
	s_endpgm
.Ltmp1:
	.section	.rodata,"a",@progbits
	.p2align	6, 0x0
	.amdhsa_kernel vecadd_kernel
		.amdhsa_group_segment_fixed_size 0
		.amdhsa_private_segment_fixed_size 0
		.amdhsa_kernarg_size 48
		.amdhsa_user_sgpr_count 2
		.amdhsa_user_sgpr_dispatch_ptr 0
		.amdhsa_user_sgpr_queue_ptr 0
		.amdhsa_user_sgpr_kernarg_segment_ptr 1
		.amdhsa_user_sgpr_dispatch_id 0
		.amdhsa_user_sgpr_private_segment_size 0
		.amdhsa_wavefront_size32 1
		.amdhsa_uses_dynamic_stack 0
		.amdhsa_enable_private_segment 0
		.amdhsa_system_sgpr_workgroup_id_x 1
		.amdhsa_system_sgpr_workgroup_id_y 1
		.amdhsa_system_sgpr_workgroup_id_z 1
		.amdhsa_system_sgpr_workgroup_info 0
		.amdhsa_system_vgpr_workitem_id 0
		.amdhsa_next_free_vgpr 34
		.amdhsa_next_free_sgpr 17
		.amdhsa_reserve_vcc 1
		.amdhsa_float_round_mode_32 0
		.amdhsa_float_round_mode_16_64 0
		.amdhsa_float_denorm_mode_32 3
		.amdhsa_float_denorm_mode_16_64 3
		.amdhsa_fp16_overflow 0
		.amdhsa_workgroup_processor_mode 1
		.amdhsa_memory_ordered 1
		.amdhsa_forward_progress 1
		.amdhsa_inst_pref_size 16
		.amdhsa_round_robin_scheduling 0
		.amdhsa_exception_fp_ieee_invalid_op 0
		.amdhsa_exception_fp_denorm_src 0
		.amdhsa_exception_fp_ieee_div_zero 0
		.amdhsa_exception_fp_ieee_overflow 0
		.amdhsa_exception_fp_ieee_underflow 0
		.amdhsa_exception_fp_ieee_inexact 0
		.amdhsa_exception_int_div_zero 0
	.end_amdhsa_kernel
	.text
.Lfunc_end0:
	.size	vecadd_kernel, .Lfunc_end0-vecadd_kernel
	.cfi_endproc
                                        ; -- End function
	.set vecadd_kernel.num_vgpr, 34
	.set vecadd_kernel.num_agpr, 0
	.set vecadd_kernel.numbered_sgpr, 17
	.set vecadd_kernel.num_named_barrier, 0
	.set vecadd_kernel.private_seg_size, 0
	.set vecadd_kernel.uses_vcc, 1
	.set vecadd_kernel.uses_flat_scratch, 0
	.set vecadd_kernel.has_dyn_sized_stack, 0
	.set vecadd_kernel.has_recursion, 0
	.set vecadd_kernel.has_indirect_call, 0
	.section	.AMDGPU.csdata,"",@progbits
; Kernel info:
; codeLenInByte = 1936
; TotalNumSgprs: 19
; NumVgprs: 34
; ScratchSize: 0
; MemoryBound: 0
; FloatMode: 240
; IeeeMode: 1
; LDSByteSize: 0 bytes/workgroup (compile time only)
; SGPRBlocks: 0
; VGPRBlocks: 4
; NumSGPRsForWavesPerEU: 19
; NumVGPRsForWavesPerEU: 34
; Occupancy: 16
; WaveLimiterHint : 0
; COMPUTE_PGM_RSRC2:SCRATCH_EN: 0
; COMPUTE_PGM_RSRC2:USER_SGPR: 2
; COMPUTE_PGM_RSRC2:TRAP_HANDLER: 0
; COMPUTE_PGM_RSRC2:TGID_X_EN: 1
; COMPUTE_PGM_RSRC2:TGID_Y_EN: 1
; COMPUTE_PGM_RSRC2:TGID_Z_EN: 1
; COMPUTE_PGM_RSRC2:TIDIG_COMP_CNT: 0
	.text
	.p2alignl 7, 3214868480
	.fill 96, 4, 3214868480
	.section	.AMDGPU.gpr_maximums,"",@progbits
	.set amdgpu.max_num_vgpr, 0
	.set amdgpu.max_num_agpr, 0
	.set amdgpu.max_num_sgpr, 0
	.set amdgpu.max_num_named_barrier, 0
	.text
	.section	.debug_abbrev,"",@progbits
	.byte	1                               ; Abbreviation Code
	.byte	17                              ; DW_TAG_compile_unit
	.byte	0                               ; DW_CHILDREN_no
	.byte	37                              ; DW_AT_producer
	.byte	14                              ; DW_FORM_strp
	.byte	19                              ; DW_AT_language
	.byte	5                               ; DW_FORM_data2
	.byte	3                               ; DW_AT_name
	.byte	14                              ; DW_FORM_strp
	.byte	16                              ; DW_AT_stmt_list
	.byte	23                              ; DW_FORM_sec_offset
	.byte	27                              ; DW_AT_comp_dir
	.byte	14                              ; DW_FORM_strp
	.byte	17                              ; DW_AT_low_pc
	.byte	1                               ; DW_FORM_addr
	.byte	18                              ; DW_AT_high_pc
	.byte	6                               ; DW_FORM_data4
	.byte	0                               ; EOM(1)
	.byte	0                               ; EOM(2)
	;; [unrolled: 1-line block ×3, first 2 shown]
	.section	.debug_info,"",@progbits
.Lcu_begin0:
	.long	.Ldebug_info_end0-.Ldebug_info_start0 ; Length of Unit
.Ldebug_info_start0:
	.short	4                               ; DWARF version number
	.long	.debug_abbrev                   ; Offset Into Abbrev. Section
	.byte	8                               ; Address Size (in bytes)
	.byte	1                               ; Abbrev [1] 0xb:0x1f DW_TAG_compile_unit
	.long	.Linfo_string0                  ; DW_AT_producer
	.short	2                               ; DW_AT_language
	.long	.Linfo_string1                  ; DW_AT_name
	.long	.Lline_table_start0             ; DW_AT_stmt_list
	.long	.Linfo_string2                  ; DW_AT_comp_dir
	.quad	.Lfunc_begin0                   ; DW_AT_low_pc
	.long	.Lfunc_end0-.Lfunc_begin0       ; DW_AT_high_pc
.Ldebug_info_end0:
	.section	.debug_str,"MS",@progbits,1
.Linfo_string0:
	.asciz	"triton"                        ; string offset=0
.Linfo_string1:
	.asciz	"vecadd_pipelined.py"           ; string offset=7
.Linfo_string2:
	.asciz	"/root/src/amdgpu-assembly/repos/triton-lang__triton-aot" ; string offset=27
	.section	".note.GNU-stack","",@progbits
	.amdgpu_metadata
---
amdhsa.kernels:
  - .args:
      - .address_space:  global
        .offset:         0
        .size:           8
        .value_kind:     global_buffer
      - .address_space:  global
        .offset:         8
        .size:           8
        .value_kind:     global_buffer
      - .address_space:  global
        .offset:         16
        .size:           8
        .value_kind:     global_buffer
      - .offset:         24
        .size:           4
        .value_kind:     by_value
      - .offset:         28
        .size:           4
        .value_kind:     by_value
      - .address_space:  global
        .offset:         32
        .size:           8
        .value_kind:     global_buffer
      - .address_space:  global
        .offset:         40
        .size:           8
        .value_kind:     global_buffer
    .group_segment_fixed_size: 0
    .kernarg_segment_align: 8
    .kernarg_segment_size: 48
    .max_flat_workgroup_size: 256
    .name:           vecadd_kernel
    .private_segment_fixed_size: 0
    .sgpr_count:     19
    .sgpr_spill_count: 0
    .symbol:         vecadd_kernel.kd
    .uniform_work_group_size: 1
    .uses_dynamic_stack: false
    .vgpr_count:     34
    .vgpr_spill_count: 0
    .wavefront_size: 32
    .workgroup_processor_mode: 1
amdhsa.target:   amdgcn-amd-amdhsa--gfx1201
amdhsa.version:
  - 1
  - 2
...

	.end_amdgpu_metadata
	.section	.debug_line,"",@progbits
.Lline_table_start0:
